;; amdgpu-corpus repo=ROCm/aiter kind=harvested arch=n/a opt=n/a

/root/src/amdgpu-assembly/repos/ROCm__aiter/hsa/gfx950/fmha_v3_bwd/bwd_hd128_dq_convert_fp16.co:	file format elf64-amdgpu

Disassembly of section .text:

0000000000002100 <_ZN5aiter30fmha_bwd_hd128_dq_convert_fp16E>:
	s_and_b32 s1, s1, 0xffff                                   // 000000002100: 8601FF01 0000FFFF
	s_load_dwordx2 s[12:13], s[0:1], 0x0                       // 000000002108: C0060300 00000000
	s_load_dwordx2 s[16:17], s[0:1], 0x10                      // 000000002110: C0060400 00000010
	s_load_dword s6, s[0:1], 0x20                              // 000000002118: C0020180 00000020
	s_load_dword s8, s[0:1], 0x40                              // 000000002120: C0020200 00000040
	s_load_dword s9, s[0:1], 0x50                              // 000000002128: C0020240 00000050
	s_load_dword s11, s[0:1], 0x70                             // 000000002130: C00202C0 00000070
	s_load_dword s34, s[0:1], 0x90                             // 000000002138: C0020880 00000090
	s_load_dword s7, s[0:1], 0x30                              // 000000002140: C00201C0 00000030
	s_load_dword s10, s[0:1], 0x60                             // 000000002148: C0020280 00000060
	s_load_dword s35, s[0:1], 0x80                             // 000000002150: C00208C0 00000080
	v_lshrrev_b32_e32 v1, 10, v0                               // 000000002158: 2002008A
	v_lshrrev_b32_e32 v2, 10, v1                               // 00000000215C: 2004028A
	v_and_b32_e32 v2, 0x3ff, v2                                // 000000002160: 260404FF 000003FF
	v_and_b32_e32 v1, 0x3ff, v1                                // 000000002168: 260202FF 000003FF
	v_and_b32_e32 v0, 0x3ff, v0                                // 000000002170: 260000FF 000003FF
	v_lshrrev_b32_e32 v3, 6, v0                                // 000000002178: 20060086
	v_and_b32_e32 v0, 63, v0                                   // 00000000217C: 260000BF
	s_mov_b32 s2, s2                                           // 000000002180: BE820002
	s_mov_b32 s3, s3                                           // 000000002184: BE830003
	s_mov_b32 s4, s4                                           // 000000002188: BE840004
	v_readfirstlane_b32 s24, v3                                // 00000000218C: 7E300503
	s_waitcnt lgkmcnt(0)                                       // 000000002190: BF8CC07F
	s_mov_b32 s15, 0x20000                                     // 000000002194: BE8F00FF 00020000
	s_mov_b32 s19, 0x20000                                     // 00000000219C: BE9300FF 00020000
	s_and_b32 s13, s13, 0xffff                                 // 0000000021A4: 860DFF0D 0000FFFF
	s_and_b32 s17, s17, 0xffff                                 // 0000000021AC: 8611FF11 0000FFFF
	s_or_b32 s13, s13, 0x40000                                 // 0000000021B4: 870DFF0D 00040000
	s_or_b32 s17, s17, 0x40000                                 // 0000000021BC: 8711FF11 00040000
	v_mov_b32_e32 v23, 0                                       // 0000000021C4: 7E2E0280
	s_mov_b32 s20, s12                                         // 0000000021C8: BE94000C
	s_mov_b32 s21, s13                                         // 0000000021CC: BE95000D
	s_mov_b32 s22, s16                                         // 0000000021D0: BE960010
	s_mov_b32 s23, s17                                         // 0000000021D4: BE970011
	s_mul_i32 s25, s8, 64                                      // 0000000021D8: 9219C008
	s_mul_i32 s25, s2, s25                                     // 0000000021DC: 92191902
	s_mul_i32 s26, s3, s6                                      // 0000000021E0: 921A0603
	s_mul_hi_u32 s29, s3, s6                                   // 0000000021E4: 961D0603
	s_add_u32 s28, s25, s26                                    // 0000000021E8: 801C1A19
	s_addc_u32 s29, s29, 0                                     // 0000000021EC: 821D801D
	s_mul_i32 s26, s4, s7                                      // 0000000021F0: 921A0704
	s_mul_hi_u32 s27, s4, s7                                   // 0000000021F4: 961B0704
	s_add_u32 s28, s28, s26                                    // 0000000021F8: 801C1A1C
	s_addc_u32 s29, s29, s27                                   // 0000000021FC: 821D1B1D
	s_mul_i32 s26, s35, s8                                     // 000000002200: 921A0823
	s_sub_i32 s26, s26, s25                                    // 000000002204: 819A191A
	s_mov_b32 s14, s26                                         // 000000002208: BE8E001A
	s_add_u32 s12, s28, s20                                    // 00000000220C: 800C141C
	s_addc_u32 s13, s29, s21                                   // 000000002210: 820D151D
	s_mul_i32 s25, s11, 64                                     // 000000002214: 9219C00B
	s_mul_i32 s25, s2, s25                                     // 000000002218: 92191902
	s_mul_i32 s26, s3, s9                                      // 00000000221C: 921A0903
	s_mul_hi_u32 s28, s3, s9                                   // 000000002220: 961C0903
	s_add_u32 s29, s25, s26                                    // 000000002224: 801D1A19
	s_addc_u32 s28, s28, 0                                     // 000000002228: 821C801C
	s_mul_i32 s26, s4, s10                                     // 00000000222C: 921A0A04
	s_mul_hi_u32 s27, s4, s10                                  // 000000002230: 961B0A04
	s_add_u32 s29, s29, s26                                    // 000000002234: 801D1A1D
	s_addc_u32 s28, s28, s27                                   // 000000002238: 821C1B1C
	s_mul_i32 s26, s35, s11                                    // 00000000223C: 921A0B23
	s_sub_i32 s26, s26, s25                                    // 000000002240: 819A191A
	s_mov_b32 s18, s26                                         // 000000002244: BE92001A
	s_add_u32 s16, s29, s22                                    // 000000002248: 8010161D
	s_addc_u32 s17, s28, s23                                   // 00000000224C: 8211171C
	v_readfirstlane_b32 s24, v3                                // 000000002250: 7E300503
	v_lshrrev_b32_e32 v20, 4, v0                               // 000000002254: 20280084
	v_mul_i32_i24_e32 v20, s8, v20                             // 000000002258: 0C282808
	v_and_b32_e32 v21, 15, v0                                  // 00000000225C: 262A008F
	v_mul_i32_i24_e32 v21, 16, v21                             // 000000002260: 0C2A2A90
	v_add_u32_e32 v21, v20, v21                                // 000000002264: 682A2B14
	v_mov_b32_e32 v4, v21                                      // 000000002268: 7E080315
	s_mul_i32 s25, 16, s8                                      // 00000000226C: 92190890
	s_mul_i32 s25, s24, s25                                    // 000000002270: 92191918
	v_add_u32_e32 v4, s25, v4                                  // 000000002274: 68080819
	v_mov_b32_e32 v6, 0                                        // 000000002278: 7E0C0280
	v_lshrrev_b32_e32 v20, 5, v0                               // 00000000227C: 20280085
	v_lshlrev_b32_e32 v20, 1, v20                              // 000000002280: 24282881
	v_mul_i32_i24_e32 v20, s11, v20                            // 000000002284: 0C28280B
	v_and_b32_e32 v21, 15, v0                                  // 000000002288: 262A008F
	v_lshlrev_b32_e32 v21, 3, v21                              // 00000000228C: 242A2A83
	v_and_b32_e32 v22, 31, v0                                  // 000000002290: 262C009F
	v_lshrrev_b32_e32 v22, 4, v22                              // 000000002294: 202C2C84
	v_lshlrev_b32_e32 v22, 2, v22                              // 000000002298: 242C2C82
	v_add_u32_e32 v6, v20, v6                                  // 00000000229C: 680C0D14
	v_add_u32_e32 v6, v21, v6                                  // 0000000022A0: 680C0D15
	v_add_u32_e32 v6, v22, v6                                  // 0000000022A4: 680C0D16
	s_mul_i32 s25, 16, s11                                     // 0000000022A8: 92190B90
	s_mul_i32 s25, s24, s25                                    // 0000000022AC: 92191918
	v_add_u32_e32 v6, s25, v6                                  // 0000000022B0: 680C0C19
	v_and_b32_e32 v20, 15, v0                                  // 0000000022B4: 2628008F
	v_lshlrev_b32_e32 v20, 2, v20                              // 0000000022B8: 24282882
	s_sub_i32 s25, s34, 64                                     // 0000000022BC: 8199C022
	v_cmp_lt_u32_e64 s[30:31], v20, s25                        // 0000000022C0: D0C9001E 00003314
	v_and_b32_e32 v20, 15, v0                                  // 0000000022C8: 2628008F
	v_lshrrev_b32_e32 v20, 1, v20                              // 0000000022CC: 20282881
	v_lshlrev_b32_e32 v20, 3, v20                              // 0000000022D0: 24282883
	s_sub_i32 s25, s34, 64                                     // 0000000022D4: 8199C022
	v_cmp_lt_u32_e64 s[32:33], v20, s25                        // 0000000022D8: D0C90020 00003314
	s_mul_i32 s25, s8, 0                                       // 0000000022E0: 92198008
	s_lshl_b32 s25, s25, 2                                     // 0000000022E4: 8E198219
	v_add_u32_e32 v5, s25, v4                                  // 0000000022E8: 680A0819
	buffer_load_dwordx4 v[8:11], v5, s[12:15], 0 offen         // 0000000022EC: E05C1000 80030805
	v_add_u32_e32 v5, 0x100, v5                                // 0000000022F4: 680A0AFF 00000100
	s_waitcnt vmcnt(0) expcnt(0) lgkmcnt(0)                    // 0000000022FC: BF8C0000
	s_barrier                                                  // 000000002300: BF8A0000
	v_cvt_pk_f16_f32 v16, v8, v9                               // 000000002304: D2670010 00021308
	v_cvt_pk_f16_f32 v17, v10, v11                             // 00000000230C: D2670011 0002170A
	s_nop 1                                                    // 000000002314: BF800001
	v_permlane16_swap_b32_e32 v16, v17                         // 000000002318: 7E20B311
	s_nop 1                                                    // 00000000231C: BF800001
	s_mul_i32 s25, s11, 0                                      // 000000002320: 9219800B
	s_lshl_b32 s25, s25, 2                                     // 000000002324: 8E198219
	s_lshl_b32 s26, 0, 7                                       // 000000002328: 8E1A8780
	v_add_u32_e32 v7, s25, v6                                  // 00000000232C: 680E0C19
	v_add_u32_e32 v7, s26, v7                                  // 000000002330: 680E0E1A
	buffer_store_dword v16, v7, s[16:19], 0 offen              // 000000002334: E0701000 80041007
	v_add_u32_e32 v7, s11, v7                                  // 00000000233C: 680E0E0B
	buffer_store_dword v17, v7, s[16:19], 0 offen              // 000000002340: E0701000 80041107
	v_mov_b32_e32 v12, 0                                       // 000000002348: 7E180280
	v_mov_b32_e32 v13, 0                                       // 00000000234C: 7E1A0280
	v_mov_b32_e32 v14, 0                                       // 000000002350: 7E1C0280
	v_mov_b32_e32 v15, 0                                       // 000000002354: 7E1E0280
	s_mov_b64 exec, s[30:31]                                   // 000000002358: BEFE011E
	buffer_load_dwordx4 v[12:15], v5, s[12:15], 0 offen        // 00000000235C: E05C1000 80030C05
	s_mov_b64 exec, -1                                         // 000000002364: BEFE01C1
	v_add_u32_e32 v5, 0x100, v5                                // 000000002368: 680A0AFF 00000100
	s_waitcnt vmcnt(0) expcnt(0) lgkmcnt(0)                    // 000000002370: BF8C0000
	s_barrier                                                  // 000000002374: BF8A0000
	v_cvt_pk_f16_f32 v18, v12, v13                             // 000000002378: D2670012 00021B0C
	v_cvt_pk_f16_f32 v19, v14, v15                             // 000000002380: D2670013 00021F0E
	s_nop 1                                                    // 000000002388: BF800001
	v_permlane16_swap_b32_e32 v18, v19                         // 00000000238C: 7E24B313
	s_nop 1                                                    // 000000002390: BF800001
	s_mul_i32 s25, s11, 0                                      // 000000002394: 9219800B
	s_lshl_b32 s25, s25, 2                                     // 000000002398: 8E198219
	s_lshl_b32 s26, 1, 7                                       // 00000000239C: 8E1A8781
	v_add_u32_e32 v7, s25, v6                                  // 0000000023A0: 680E0C19
	v_add_u32_e32 v7, s26, v7                                  // 0000000023A4: 680E0E1A
	s_mov_b64 exec, s[32:33]                                   // 0000000023A8: BEFE0120
	buffer_store_dword v18, v7, s[16:19], 0 offen              // 0000000023AC: E0701000 80041207
	v_add_u32_e32 v7, s11, v7                                  // 0000000023B4: 680E0E0B
	buffer_store_dword v19, v7, s[16:19], 0 offen              // 0000000023B8: E0701000 80041307
	s_mov_b64 exec, -1                                         // 0000000023C0: BEFE01C1
	s_mul_i32 s25, s8, 1                                       // 0000000023C4: 92198108
	s_lshl_b32 s25, s25, 2                                     // 0000000023C8: 8E198219
	v_add_u32_e32 v5, s25, v4                                  // 0000000023CC: 680A0819
	buffer_load_dwordx4 v[8:11], v5, s[12:15], 0 offen         // 0000000023D0: E05C1000 80030805
	v_add_u32_e32 v5, 0x100, v5                                // 0000000023D8: 680A0AFF 00000100
	s_waitcnt vmcnt(0) expcnt(0) lgkmcnt(0)                    // 0000000023E0: BF8C0000
	s_barrier                                                  // 0000000023E4: BF8A0000
	v_cvt_pk_f16_f32 v16, v8, v9                               // 0000000023E8: D2670010 00021308
	v_cvt_pk_f16_f32 v17, v10, v11                             // 0000000023F0: D2670011 0002170A
	s_nop 1                                                    // 0000000023F8: BF800001
	v_permlane16_swap_b32_e32 v16, v17                         // 0000000023FC: 7E20B311
	s_nop 1                                                    // 000000002400: BF800001
	s_mul_i32 s25, s11, 1                                      // 000000002404: 9219810B
	s_lshl_b32 s25, s25, 2                                     // 000000002408: 8E198219
	s_lshl_b32 s26, 0, 7                                       // 00000000240C: 8E1A8780
	v_add_u32_e32 v7, s25, v6                                  // 000000002410: 680E0C19
	v_add_u32_e32 v7, s26, v7                                  // 000000002414: 680E0E1A
	buffer_store_dword v16, v7, s[16:19], 0 offen              // 000000002418: E0701000 80041007
	v_add_u32_e32 v7, s11, v7                                  // 000000002420: 680E0E0B
	buffer_store_dword v17, v7, s[16:19], 0 offen              // 000000002424: E0701000 80041107
	v_mov_b32_e32 v12, 0                                       // 00000000242C: 7E180280
	v_mov_b32_e32 v13, 0                                       // 000000002430: 7E1A0280
	v_mov_b32_e32 v14, 0                                       // 000000002434: 7E1C0280
	v_mov_b32_e32 v15, 0                                       // 000000002438: 7E1E0280
	s_mov_b64 exec, s[30:31]                                   // 00000000243C: BEFE011E
	buffer_load_dwordx4 v[12:15], v5, s[12:15], 0 offen        // 000000002440: E05C1000 80030C05
	s_mov_b64 exec, -1                                         // 000000002448: BEFE01C1
	v_add_u32_e32 v5, 0x100, v5                                // 00000000244C: 680A0AFF 00000100
	s_waitcnt vmcnt(0) expcnt(0) lgkmcnt(0)                    // 000000002454: BF8C0000
	s_barrier                                                  // 000000002458: BF8A0000
	v_cvt_pk_f16_f32 v18, v12, v13                             // 00000000245C: D2670012 00021B0C
	v_cvt_pk_f16_f32 v19, v14, v15                             // 000000002464: D2670013 00021F0E
	s_nop 1                                                    // 00000000246C: BF800001
	v_permlane16_swap_b32_e32 v18, v19                         // 000000002470: 7E24B313
	s_nop 1                                                    // 000000002474: BF800001
	s_mul_i32 s25, s11, 1                                      // 000000002478: 9219810B
	s_lshl_b32 s25, s25, 2                                     // 00000000247C: 8E198219
	s_lshl_b32 s26, 1, 7                                       // 000000002480: 8E1A8781
	v_add_u32_e32 v7, s25, v6                                  // 000000002484: 680E0C19
	v_add_u32_e32 v7, s26, v7                                  // 000000002488: 680E0E1A
	s_mov_b64 exec, s[32:33]                                   // 00000000248C: BEFE0120
	buffer_store_dword v18, v7, s[16:19], 0 offen              // 000000002490: E0701000 80041207
	v_add_u32_e32 v7, s11, v7                                  // 000000002498: 680E0E0B
	buffer_store_dword v19, v7, s[16:19], 0 offen              // 00000000249C: E0701000 80041307
	s_mov_b64 exec, -1                                         // 0000000024A4: BEFE01C1
	s_mul_i32 s25, s8, 2                                       // 0000000024A8: 92198208
	s_lshl_b32 s25, s25, 2                                     // 0000000024AC: 8E198219
	v_add_u32_e32 v5, s25, v4                                  // 0000000024B0: 680A0819
	buffer_load_dwordx4 v[8:11], v5, s[12:15], 0 offen         // 0000000024B4: E05C1000 80030805
	v_add_u32_e32 v5, 0x100, v5                                // 0000000024BC: 680A0AFF 00000100
	s_waitcnt vmcnt(0) expcnt(0) lgkmcnt(0)                    // 0000000024C4: BF8C0000
	s_barrier                                                  // 0000000024C8: BF8A0000
	v_cvt_pk_f16_f32 v16, v8, v9                               // 0000000024CC: D2670010 00021308
	v_cvt_pk_f16_f32 v17, v10, v11                             // 0000000024D4: D2670011 0002170A
	s_nop 1                                                    // 0000000024DC: BF800001
	v_permlane16_swap_b32_e32 v16, v17                         // 0000000024E0: 7E20B311
	s_nop 1                                                    // 0000000024E4: BF800001
	s_mul_i32 s25, s11, 2                                      // 0000000024E8: 9219820B
	s_lshl_b32 s25, s25, 2                                     // 0000000024EC: 8E198219
	s_lshl_b32 s26, 0, 7                                       // 0000000024F0: 8E1A8780
	v_add_u32_e32 v7, s25, v6                                  // 0000000024F4: 680E0C19
	v_add_u32_e32 v7, s26, v7                                  // 0000000024F8: 680E0E1A
	buffer_store_dword v16, v7, s[16:19], 0 offen              // 0000000024FC: E0701000 80041007
	v_add_u32_e32 v7, s11, v7                                  // 000000002504: 680E0E0B
	buffer_store_dword v17, v7, s[16:19], 0 offen              // 000000002508: E0701000 80041107
	v_mov_b32_e32 v12, 0                                       // 000000002510: 7E180280
	v_mov_b32_e32 v13, 0                                       // 000000002514: 7E1A0280
	v_mov_b32_e32 v14, 0                                       // 000000002518: 7E1C0280
	v_mov_b32_e32 v15, 0                                       // 00000000251C: 7E1E0280
	s_mov_b64 exec, s[30:31]                                   // 000000002520: BEFE011E
	buffer_load_dwordx4 v[12:15], v5, s[12:15], 0 offen        // 000000002524: E05C1000 80030C05
	s_mov_b64 exec, -1                                         // 00000000252C: BEFE01C1
	v_add_u32_e32 v5, 0x100, v5                                // 000000002530: 680A0AFF 00000100
	s_waitcnt vmcnt(0) expcnt(0) lgkmcnt(0)                    // 000000002538: BF8C0000
	s_barrier                                                  // 00000000253C: BF8A0000
	v_cvt_pk_f16_f32 v18, v12, v13                             // 000000002540: D2670012 00021B0C
	v_cvt_pk_f16_f32 v19, v14, v15                             // 000000002548: D2670013 00021F0E
	s_nop 1                                                    // 000000002550: BF800001
	v_permlane16_swap_b32_e32 v18, v19                         // 000000002554: 7E24B313
	s_nop 1                                                    // 000000002558: BF800001
	s_mul_i32 s25, s11, 2                                      // 00000000255C: 9219820B
	s_lshl_b32 s25, s25, 2                                     // 000000002560: 8E198219
	s_lshl_b32 s26, 1, 7                                       // 000000002564: 8E1A8781
	v_add_u32_e32 v7, s25, v6                                  // 000000002568: 680E0C19
	v_add_u32_e32 v7, s26, v7                                  // 00000000256C: 680E0E1A
	s_mov_b64 exec, s[32:33]                                   // 000000002570: BEFE0120
	buffer_store_dword v18, v7, s[16:19], 0 offen              // 000000002574: E0701000 80041207
	v_add_u32_e32 v7, s11, v7                                  // 00000000257C: 680E0E0B
	buffer_store_dword v19, v7, s[16:19], 0 offen              // 000000002580: E0701000 80041307
	s_mov_b64 exec, -1                                         // 000000002588: BEFE01C1
	s_mul_i32 s25, s8, 3                                       // 00000000258C: 92198308
	s_lshl_b32 s25, s25, 2                                     // 000000002590: 8E198219
	v_add_u32_e32 v5, s25, v4                                  // 000000002594: 680A0819
	buffer_load_dwordx4 v[8:11], v5, s[12:15], 0 offen         // 000000002598: E05C1000 80030805
	v_add_u32_e32 v5, 0x100, v5                                // 0000000025A0: 680A0AFF 00000100
	s_waitcnt vmcnt(0) expcnt(0) lgkmcnt(0)                    // 0000000025A8: BF8C0000
	s_barrier                                                  // 0000000025AC: BF8A0000
	v_cvt_pk_f16_f32 v16, v8, v9                               // 0000000025B0: D2670010 00021308
	v_cvt_pk_f16_f32 v17, v10, v11                             // 0000000025B8: D2670011 0002170A
	s_nop 1                                                    // 0000000025C0: BF800001
	v_permlane16_swap_b32_e32 v16, v17                         // 0000000025C4: 7E20B311
	s_nop 1                                                    // 0000000025C8: BF800001
	s_mul_i32 s25, s11, 3                                      // 0000000025CC: 9219830B
	s_lshl_b32 s25, s25, 2                                     // 0000000025D0: 8E198219
	s_lshl_b32 s26, 0, 7                                       // 0000000025D4: 8E1A8780
	v_add_u32_e32 v7, s25, v6                                  // 0000000025D8: 680E0C19
	v_add_u32_e32 v7, s26, v7                                  // 0000000025DC: 680E0E1A
	buffer_store_dword v16, v7, s[16:19], 0 offen              // 0000000025E0: E0701000 80041007
	v_add_u32_e32 v7, s11, v7                                  // 0000000025E8: 680E0E0B
	buffer_store_dword v17, v7, s[16:19], 0 offen              // 0000000025EC: E0701000 80041107
	v_mov_b32_e32 v12, 0                                       // 0000000025F4: 7E180280
	v_mov_b32_e32 v13, 0                                       // 0000000025F8: 7E1A0280
	v_mov_b32_e32 v14, 0                                       // 0000000025FC: 7E1C0280
	v_mov_b32_e32 v15, 0                                       // 000000002600: 7E1E0280
	s_mov_b64 exec, s[30:31]                                   // 000000002604: BEFE011E
	buffer_load_dwordx4 v[12:15], v5, s[12:15], 0 offen        // 000000002608: E05C1000 80030C05
	s_mov_b64 exec, -1                                         // 000000002610: BEFE01C1
	v_add_u32_e32 v5, 0x100, v5                                // 000000002614: 680A0AFF 00000100
	s_waitcnt vmcnt(0) expcnt(0) lgkmcnt(0)                    // 00000000261C: BF8C0000
	s_barrier                                                  // 000000002620: BF8A0000
	v_cvt_pk_f16_f32 v18, v12, v13                             // 000000002624: D2670012 00021B0C
	v_cvt_pk_f16_f32 v19, v14, v15                             // 00000000262C: D2670013 00021F0E
	s_nop 1                                                    // 000000002634: BF800001
	v_permlane16_swap_b32_e32 v18, v19                         // 000000002638: 7E24B313
	s_nop 1                                                    // 00000000263C: BF800001
	s_mul_i32 s25, s11, 3                                      // 000000002640: 9219830B
	s_lshl_b32 s25, s25, 2                                     // 000000002644: 8E198219
	s_lshl_b32 s26, 1, 7                                       // 000000002648: 8E1A8781
	v_add_u32_e32 v7, s25, v6                                  // 00000000264C: 680E0C19
	v_add_u32_e32 v7, s26, v7                                  // 000000002650: 680E0E1A
	s_mov_b64 exec, s[32:33]                                   // 000000002654: BEFE0120
	buffer_store_dword v18, v7, s[16:19], 0 offen              // 000000002658: E0701000 80041207
	v_add_u32_e32 v7, s11, v7                                  // 000000002660: 680E0E0B
	buffer_store_dword v19, v7, s[16:19], 0 offen              // 000000002664: E0701000 80041307
	s_mov_b64 exec, -1                                         // 00000000266C: BEFE01C1
	s_waitcnt vmcnt(0) expcnt(0) lgkmcnt(0)                    // 000000002670: BF8C0000
	s_endpgm                                                   // 000000002674: BF810000
